;; amdgpu-corpus repo=pytorch/pytorch kind=compiled arch=gfx90a opt=O3
	.text
	.amdgcn_target "amdgcn-amd-amdhsa--gfx90a"
	.amdhsa_code_object_version 6
	.section	.text._ZN2at6native12_GLOBAL__N_123philox_key_split_kernelEPKmPmll,"axG",@progbits,_ZN2at6native12_GLOBAL__N_123philox_key_split_kernelEPKmPmll,comdat
	.globl	_ZN2at6native12_GLOBAL__N_123philox_key_split_kernelEPKmPmll ; -- Begin function _ZN2at6native12_GLOBAL__N_123philox_key_split_kernelEPKmPmll
	.p2align	8
	.type	_ZN2at6native12_GLOBAL__N_123philox_key_split_kernelEPKmPmll,@function
_ZN2at6native12_GLOBAL__N_123philox_key_split_kernelEPKmPmll: ; @_ZN2at6native12_GLOBAL__N_123philox_key_split_kernelEPKmPmll
; %bb.0:
	s_load_dwordx4 s[8:11], s[4:5], 0x10
	s_load_dword s7, s[4:5], 0x2c
	v_mov_b32_e32 v2, 0
	v_mov_b32_e32 v1, v2
	;; [unrolled: 1-line block ×3, first 2 shown]
	s_waitcnt lgkmcnt(0)
	s_mul_i32 s0, s10, s9
	s_mul_hi_u32 s1, s10, s8
	s_add_i32 s0, s1, s0
	s_mul_i32 s1, s11, s8
	s_add_i32 s3, s0, s1
	s_add_u32 s0, s4, 32
	s_addc_u32 s1, s5, 0
	s_and_b32 s7, s7, 0xffff
	s_mul_i32 s2, s10, s8
	v_mad_u64_u32 v[0:1], s[10:11], s7, v3, v[0:1]
	v_cmp_gt_i64_e32 vcc, s[2:3], v[0:1]
	s_and_saveexec_b64 s[10:11], vcc
	s_cbranch_execz .LBB0_7
; %bb.1:
	v_cvt_f32_u32_e32 v3, s8
	s_load_dword s6, s[0:1], 0x0
	s_load_dwordx4 s[12:15], s[4:5], 0x0
	s_lshl_b64 s[0:1], s[8:9], 4
	s_sub_u32 s22, 0, s0
	v_rcp_iflag_f32_e32 v3, v3
	s_waitcnt lgkmcnt(0)
	s_mul_hi_u32 s5, s7, s6
	s_mul_i32 s4, s7, s6
	s_mov_b64 s[6:7], 0
	v_mul_f32_e32 v3, 0x4f7ffffe, v3
	v_cvt_u32_f32_e32 v8, v3
	s_subb_u32 s23, 0, s1
	v_lshlrev_b64 v[4:5], 4, v[0:1]
	s_lshl_b64 s[10:11], s[4:5], 4
	s_ashr_i32 s16, s9, 31
	s_mov_b32 s24, 0xd2511f53
	s_mov_b32 s25, 0xcd9e8d57
	s_branch .LBB0_3
.LBB0_2:                                ;   in Loop: Header=BB0_3 Depth=1
	s_or_b64 exec, exec, s[0:1]
	v_mad_u64_u32 v[10:11], s[0:1], s22, v6, v[4:5]
	v_mul_lo_u32 v3, s22, v7
	v_mul_lo_u32 v9, s23, v6
	v_add3_u32 v3, v9, v11, v3
	v_mov_b32_e32 v9, s13
	v_add_co_u32_e32 v10, vcc, s12, v10
	v_addc_co_u32_e32 v11, vcc, v9, v3, vcc
	global_load_dwordx4 v[10:13], v[10:11], off
	s_waitcnt vmcnt(0)
	v_add_co_u32_e32 v3, vcc, v12, v6
	v_mul_lo_u32 v28, v3, s24
	v_mul_hi_u32 v3, v3, s24
	v_addc_co_u32_e32 v6, vcc, v13, v7, vcc
	v_xor_b32_e32 v3, v3, v11
	v_add_u32_e32 v7, 0x9e3779b9, v10
	v_add_u32_e32 v9, 0xbb67ae85, v11
	;; [unrolled: 1-line block ×10, first 2 shown]
	v_xor_b32_e32 v6, v6, v10
	v_mul_lo_u32 v11, v3, s25
	v_mul_hi_u32 v3, v3, s25
	v_add_u32_e32 v12, 0x3c6ef372, v10
	v_add_u32_e32 v14, 0xdaa66d2b, v10
	;; [unrolled: 1-line block ×8, first 2 shown]
	v_mul_lo_u32 v10, v6, s24
	v_mul_hi_u32 v6, v6, s24
	v_xor_b32_e32 v9, v28, v9
	v_xor_b32_e32 v3, v7, v3
	;; [unrolled: 1-line block ×5, first 2 shown]
	v_mul_lo_u32 v11, v3, s24
	v_mul_hi_u32 v3, v3, s24
	v_mul_lo_u32 v7, v6, s25
	v_mul_hi_u32 v6, v6, s25
	v_xor_b32_e32 v3, v9, v3
	v_xor_b32_e32 v6, v10, v6
	v_xor_b32_e32 v7, v7, v14
	v_xor_b32_e32 v10, v11, v15
	v_mul_lo_u32 v11, v3, s25
	v_mul_hi_u32 v3, v3, s25
	v_mul_lo_u32 v9, v6, s24
	v_mul_hi_u32 v6, v6, s24
	v_xor_b32_e32 v3, v7, v3
	v_xor_b32_e32 v6, v10, v6
	v_xor_b32_e32 v9, v9, v17
	v_xor_b32_e32 v10, v11, v16
	v_mul_lo_u32 v11, v3, s24
	v_mul_hi_u32 v3, v3, s24
	v_mul_lo_u32 v7, v6, s25
	v_mul_hi_u32 v6, v6, s25
	v_xor_b32_e32 v3, v9, v3
	v_xor_b32_e32 v6, v10, v6
	v_xor_b32_e32 v7, v7, v18
	v_xor_b32_e32 v10, v11, v19
	v_mul_lo_u32 v11, v3, s25
	v_mul_hi_u32 v3, v3, s25
	v_mul_lo_u32 v9, v6, s24
	v_mul_hi_u32 v6, v6, s24
	v_xor_b32_e32 v3, v7, v3
	v_xor_b32_e32 v6, v10, v6
	v_xor_b32_e32 v9, v9, v21
	v_xor_b32_e32 v10, v11, v20
	v_mul_lo_u32 v11, v3, s24
	v_mul_hi_u32 v3, v3, s24
	v_mul_lo_u32 v7, v6, s25
	v_mul_hi_u32 v6, v6, s25
	v_xor_b32_e32 v3, v9, v3
	v_xor_b32_e32 v6, v10, v6
	v_xor_b32_e32 v7, v7, v22
	v_xor_b32_e32 v10, v11, v23
	v_mul_lo_u32 v11, v3, s25
	v_mul_hi_u32 v3, v3, s25
	v_mul_lo_u32 v9, v6, s24
	v_mul_hi_u32 v6, v6, s24
	v_xor_b32_e32 v3, v7, v3
	v_xor_b32_e32 v6, v10, v6
	;; [unrolled: 1-line block ×3, first 2 shown]
	v_mul_lo_u32 v12, v3, s24
	v_mul_hi_u32 v3, v3, s24
	v_mul_lo_u32 v7, v6, s25
	v_mul_hi_u32 v6, v6, s25
	v_xor_b32_e32 v10, v11, v24
	v_xor_b32_e32 v3, v9, v3
	;; [unrolled: 1-line block ×3, first 2 shown]
	v_mul_lo_u32 v11, v3, s25
	v_mul_hi_u32 v3, v3, s25
	v_xor_b32_e32 v7, v7, v26
	v_mul_lo_u32 v13, v6, s24
	v_mul_hi_u32 v6, v6, s24
	v_xor_b32_e32 v10, v7, v3
	v_xor_b32_e32 v3, v12, v27
	;; [unrolled: 1-line block ×3, first 2 shown]
	v_mov_b32_e32 v3, s15
	v_add_co_u32_e32 v6, vcc, s14, v4
	v_addc_co_u32_e32 v7, vcc, v3, v5, vcc
	v_mov_b32_e32 v3, s5
	v_add_co_u32_e32 v0, vcc, s4, v0
	v_addc_co_u32_e32 v1, vcc, v1, v3, vcc
	v_cmp_le_i64_e32 vcc, s[2:3], v[0:1]
	v_mov_b32_e32 v3, s11
	s_or_b64 s[6:7], vcc, s[6:7]
	v_add_co_u32_e32 v4, vcc, s10, v4
	v_addc_co_u32_e32 v5, vcc, v5, v3, vcc
	global_store_dwordx4 v[6:7], v[10:13], off
	s_andn2_b64 exec, exec, s[6:7]
	s_cbranch_execz .LBB0_7
.LBB0_3:                                ; =>This Inner Loop Header: Depth=1
	v_or_b32_e32 v3, s9, v1
	v_cmp_ne_u64_e32 vcc, 0, v[2:3]
                                        ; implicit-def: $vgpr6_vgpr7
	s_and_saveexec_b64 s[0:1], vcc
	s_xor_b64 s[18:19], exec, s[0:1]
	s_cbranch_execz .LBB0_5
; %bb.4:                                ;   in Loop: Header=BB0_3 Depth=1
	s_add_u32 s0, s8, s16
	s_mov_b32 s17, s16
	s_addc_u32 s1, s9, s16
	s_xor_b64 s[20:21], s[0:1], s[16:17]
	v_cvt_f32_u32_e32 v3, s20
	v_cvt_f32_u32_e32 v6, s21
	s_sub_u32 s0, 0, s20
	s_subb_u32 s1, 0, s21
	v_mac_f32_e32 v3, 0x4f800000, v6
	v_rcp_f32_e32 v3, v3
	v_mul_f32_e32 v3, 0x5f7ffffc, v3
	v_mul_f32_e32 v6, 0x2f800000, v3
	v_trunc_f32_e32 v6, v6
	v_mac_f32_e32 v3, 0xcf800000, v6
	v_cvt_u32_f32_e32 v6, v6
	v_cvt_u32_f32_e32 v3, v3
	v_mul_lo_u32 v7, s0, v6
	v_mul_hi_u32 v10, s0, v3
	v_mul_lo_u32 v9, s1, v3
	v_add_u32_e32 v7, v10, v7
	v_mul_lo_u32 v11, s0, v3
	v_add_u32_e32 v7, v7, v9
	v_mul_lo_u32 v10, v3, v7
	v_mul_hi_u32 v12, v3, v11
	v_mul_hi_u32 v9, v3, v7
	v_add_co_u32_e32 v10, vcc, v12, v10
	v_addc_co_u32_e32 v9, vcc, 0, v9, vcc
	v_mul_hi_u32 v13, v6, v11
	v_mul_lo_u32 v11, v6, v11
	v_add_co_u32_e32 v10, vcc, v10, v11
	v_mul_hi_u32 v12, v6, v7
	v_addc_co_u32_e32 v9, vcc, v9, v13, vcc
	v_addc_co_u32_e32 v10, vcc, 0, v12, vcc
	v_mul_lo_u32 v7, v6, v7
	v_add_co_u32_e32 v7, vcc, v9, v7
	v_addc_co_u32_e32 v9, vcc, 0, v10, vcc
	v_add_co_u32_e32 v3, vcc, v3, v7
	v_addc_co_u32_e32 v6, vcc, v6, v9, vcc
	v_mul_lo_u32 v7, s0, v6
	v_mul_hi_u32 v9, s0, v3
	v_add_u32_e32 v7, v9, v7
	v_mul_lo_u32 v9, s1, v3
	v_add_u32_e32 v7, v7, v9
	v_mul_lo_u32 v10, s0, v3
	v_mul_hi_u32 v11, v6, v10
	v_mul_lo_u32 v12, v6, v10
	v_mul_lo_u32 v14, v3, v7
	v_mul_hi_u32 v10, v3, v10
	v_mul_hi_u32 v13, v3, v7
	v_add_co_u32_e32 v10, vcc, v10, v14
	v_addc_co_u32_e32 v13, vcc, 0, v13, vcc
	v_add_co_u32_e32 v10, vcc, v10, v12
	v_mul_hi_u32 v9, v6, v7
	v_addc_co_u32_e32 v10, vcc, v13, v11, vcc
	v_addc_co_u32_e32 v9, vcc, 0, v9, vcc
	v_mul_lo_u32 v7, v6, v7
	v_add_co_u32_e32 v7, vcc, v10, v7
	v_addc_co_u32_e32 v9, vcc, 0, v9, vcc
	v_add_co_u32_e32 v3, vcc, v3, v7
	v_addc_co_u32_e32 v9, vcc, v6, v9, vcc
	v_ashrrev_i32_e32 v12, 31, v1
	v_add_co_u32_e32 v6, vcc, v0, v12
	v_addc_co_u32_e32 v7, vcc, v1, v12, vcc
	v_xor_b32_e32 v14, v6, v12
	v_xor_b32_e32 v13, v7, v12
	v_mad_u64_u32 v[6:7], s[0:1], v14, v9, 0
	v_mul_hi_u32 v10, v14, v3
	v_add_co_u32_e32 v15, vcc, v10, v6
	v_addc_co_u32_e32 v16, vcc, 0, v7, vcc
	v_mad_u64_u32 v[10:11], s[0:1], v13, v3, 0
	v_add_co_u32_e32 v3, vcc, v15, v10
	v_mad_u64_u32 v[6:7], s[0:1], v13, v9, 0
	v_addc_co_u32_e32 v3, vcc, v16, v11, vcc
	v_addc_co_u32_e32 v7, vcc, 0, v7, vcc
	v_add_co_u32_e32 v3, vcc, v3, v6
	v_addc_co_u32_e32 v9, vcc, 0, v7, vcc
	v_mul_lo_u32 v10, s21, v3
	v_mul_lo_u32 v11, s20, v9
	v_mad_u64_u32 v[6:7], s[0:1], s20, v3, 0
	v_add3_u32 v7, v7, v11, v10
	v_sub_u32_e32 v10, v13, v7
	v_mov_b32_e32 v11, s21
	v_sub_co_u32_e32 v6, vcc, v14, v6
	v_subb_co_u32_e64 v10, s[0:1], v10, v11, vcc
	v_subrev_co_u32_e64 v11, s[0:1], s20, v6
	v_subbrev_co_u32_e64 v10, s[0:1], 0, v10, s[0:1]
	v_cmp_le_u32_e64 s[0:1], s21, v10
	v_cndmask_b32_e64 v14, 0, -1, s[0:1]
	v_cmp_le_u32_e64 s[0:1], s20, v11
	v_cndmask_b32_e64 v11, 0, -1, s[0:1]
	v_cmp_eq_u32_e64 s[0:1], s21, v10
	v_cndmask_b32_e64 v10, v14, v11, s[0:1]
	v_add_co_u32_e64 v11, s[0:1], 2, v3
	v_subb_co_u32_e32 v7, vcc, v13, v7, vcc
	v_addc_co_u32_e64 v14, s[0:1], 0, v9, s[0:1]
	v_cmp_le_u32_e32 vcc, s21, v7
	v_add_co_u32_e64 v15, s[0:1], 1, v3
	v_cndmask_b32_e64 v13, 0, -1, vcc
	v_cmp_le_u32_e32 vcc, s20, v6
	v_addc_co_u32_e64 v16, s[0:1], 0, v9, s[0:1]
	v_cndmask_b32_e64 v6, 0, -1, vcc
	v_cmp_eq_u32_e32 vcc, s21, v7
	v_cmp_ne_u32_e64 s[0:1], 0, v10
	v_cndmask_b32_e32 v6, v13, v6, vcc
	v_cmp_ne_u32_e32 vcc, 0, v6
	v_cndmask_b32_e64 v7, v15, v11, s[0:1]
	v_cndmask_b32_e64 v10, v16, v14, s[0:1]
	v_cndmask_b32_e32 v3, v3, v7, vcc
	v_xor_b32_e32 v7, s16, v12
	v_cndmask_b32_e32 v6, v9, v10, vcc
	v_xor_b32_e32 v3, v3, v7
	v_xor_b32_e32 v9, v6, v7
	v_sub_co_u32_e32 v6, vcc, v3, v7
	v_subb_co_u32_e32 v7, vcc, v9, v7, vcc
.LBB0_5:                                ;   in Loop: Header=BB0_3 Depth=1
	s_andn2_saveexec_b64 s[0:1], s[18:19]
	s_cbranch_execz .LBB0_2
; %bb.6:                                ;   in Loop: Header=BB0_3 Depth=1
	s_sub_i32 s17, 0, s8
	v_mul_lo_u32 v3, s17, v8
	v_mul_hi_u32 v3, v8, v3
	v_add_u32_e32 v3, v8, v3
	v_mul_hi_u32 v3, v0, v3
	v_mul_lo_u32 v6, v3, s8
	v_sub_u32_e32 v6, v0, v6
	v_subrev_u32_e32 v7, s8, v6
	v_cmp_le_u32_e32 vcc, s8, v6
	v_cndmask_b32_e32 v6, v6, v7, vcc
	v_add_u32_e32 v7, 1, v3
	v_cndmask_b32_e32 v3, v3, v7, vcc
	v_add_u32_e32 v7, 1, v3
	v_cmp_le_u32_e32 vcc, s8, v6
	v_cndmask_b32_e32 v6, v3, v7, vcc
	v_mov_b32_e32 v7, v2
	s_branch .LBB0_2
.LBB0_7:
	s_endpgm
	.section	.rodata,"a",@progbits
	.p2align	6, 0x0
	.amdhsa_kernel _ZN2at6native12_GLOBAL__N_123philox_key_split_kernelEPKmPmll
		.amdhsa_group_segment_fixed_size 0
		.amdhsa_private_segment_fixed_size 0
		.amdhsa_kernarg_size 288
		.amdhsa_user_sgpr_count 6
		.amdhsa_user_sgpr_private_segment_buffer 1
		.amdhsa_user_sgpr_dispatch_ptr 0
		.amdhsa_user_sgpr_queue_ptr 0
		.amdhsa_user_sgpr_kernarg_segment_ptr 1
		.amdhsa_user_sgpr_dispatch_id 0
		.amdhsa_user_sgpr_flat_scratch_init 0
		.amdhsa_user_sgpr_kernarg_preload_length 0
		.amdhsa_user_sgpr_kernarg_preload_offset 0
		.amdhsa_user_sgpr_private_segment_size 0
		.amdhsa_uses_dynamic_stack 0
		.amdhsa_system_sgpr_private_segment_wavefront_offset 0
		.amdhsa_system_sgpr_workgroup_id_x 1
		.amdhsa_system_sgpr_workgroup_id_y 0
		.amdhsa_system_sgpr_workgroup_id_z 0
		.amdhsa_system_sgpr_workgroup_info 0
		.amdhsa_system_vgpr_workitem_id 0
		.amdhsa_next_free_vgpr 29
		.amdhsa_next_free_sgpr 26
		.amdhsa_accum_offset 32
		.amdhsa_reserve_vcc 1
		.amdhsa_reserve_flat_scratch 0
		.amdhsa_float_round_mode_32 0
		.amdhsa_float_round_mode_16_64 0
		.amdhsa_float_denorm_mode_32 3
		.amdhsa_float_denorm_mode_16_64 3
		.amdhsa_dx10_clamp 1
		.amdhsa_ieee_mode 1
		.amdhsa_fp16_overflow 0
		.amdhsa_tg_split 0
		.amdhsa_exception_fp_ieee_invalid_op 0
		.amdhsa_exception_fp_denorm_src 0
		.amdhsa_exception_fp_ieee_div_zero 0
		.amdhsa_exception_fp_ieee_overflow 0
		.amdhsa_exception_fp_ieee_underflow 0
		.amdhsa_exception_fp_ieee_inexact 0
		.amdhsa_exception_int_div_zero 0
	.end_amdhsa_kernel
	.section	.text._ZN2at6native12_GLOBAL__N_123philox_key_split_kernelEPKmPmll,"axG",@progbits,_ZN2at6native12_GLOBAL__N_123philox_key_split_kernelEPKmPmll,comdat
.Lfunc_end0:
	.size	_ZN2at6native12_GLOBAL__N_123philox_key_split_kernelEPKmPmll, .Lfunc_end0-_ZN2at6native12_GLOBAL__N_123philox_key_split_kernelEPKmPmll
                                        ; -- End function
	.section	.AMDGPU.csdata,"",@progbits
; Kernel info:
; codeLenInByte = 1696
; NumSgprs: 30
; NumVgprs: 29
; NumAgprs: 0
; TotalNumVgprs: 29
; ScratchSize: 0
; MemoryBound: 0
; FloatMode: 240
; IeeeMode: 1
; LDSByteSize: 0 bytes/workgroup (compile time only)
; SGPRBlocks: 3
; VGPRBlocks: 3
; NumSGPRsForWavesPerEU: 30
; NumVGPRsForWavesPerEU: 29
; AccumOffset: 32
; Occupancy: 8
; WaveLimiterHint : 0
; COMPUTE_PGM_RSRC2:SCRATCH_EN: 0
; COMPUTE_PGM_RSRC2:USER_SGPR: 6
; COMPUTE_PGM_RSRC2:TRAP_HANDLER: 0
; COMPUTE_PGM_RSRC2:TGID_X_EN: 1
; COMPUTE_PGM_RSRC2:TGID_Y_EN: 0
; COMPUTE_PGM_RSRC2:TGID_Z_EN: 0
; COMPUTE_PGM_RSRC2:TIDIG_COMP_CNT: 0
; COMPUTE_PGM_RSRC3_GFX90A:ACCUM_OFFSET: 7
; COMPUTE_PGM_RSRC3_GFX90A:TG_SPLIT: 0
	.section	.text._ZN2at6native12_GLOBAL__N_125philox_key_fold_in_kernelEPKmPmll,"axG",@progbits,_ZN2at6native12_GLOBAL__N_125philox_key_fold_in_kernelEPKmPmll,comdat
	.globl	_ZN2at6native12_GLOBAL__N_125philox_key_fold_in_kernelEPKmPmll ; -- Begin function _ZN2at6native12_GLOBAL__N_125philox_key_fold_in_kernelEPKmPmll
	.p2align	8
	.type	_ZN2at6native12_GLOBAL__N_125philox_key_fold_in_kernelEPKmPmll,@function
_ZN2at6native12_GLOBAL__N_125philox_key_fold_in_kernelEPKmPmll: ; @_ZN2at6native12_GLOBAL__N_125philox_key_fold_in_kernelEPKmPmll
; %bb.0:
	s_load_dword s7, s[4:5], 0x2c
	s_load_dwordx4 s[0:3], s[4:5], 0x10
	s_add_u32 s12, s4, 32
	s_addc_u32 s13, s5, 0
	v_mov_b32_e32 v1, 0
	s_waitcnt lgkmcnt(0)
	s_and_b32 s7, s7, 0xffff
	v_mov_b32_e32 v2, s6
	v_mad_u64_u32 v[0:1], s[8:9], s7, v2, v[0:1]
	v_cmp_gt_i64_e32 vcc, s[0:1], v[0:1]
	s_and_saveexec_b64 s[8:9], vcc
	s_cbranch_execz .LBB1_3
; %bb.1:
	s_load_dword s6, s[12:13], 0x0
	s_load_dwordx4 s[8:11], s[4:5], 0x0
	v_lshlrev_b64 v[2:3], 4, v[0:1]
	v_mov_b32_e32 v5, s3
	s_mov_b32 s3, 0xd2511f53
	s_waitcnt lgkmcnt(0)
	s_mul_hi_u32 s5, s7, s6
	s_mul_i32 s4, s7, s6
	s_add_u32 s12, s10, 8
	s_addc_u32 s13, s11, 0
	s_lshl_b64 s[6:7], s[4:5], 4
	s_mov_b64 s[10:11], 0
	v_mov_b32_e32 v4, s9
	s_mov_b32 s9, 0xcd9e8d57
	v_mov_b32_e32 v6, s13
	v_mov_b32_e32 v7, s5
	;; [unrolled: 1-line block ×3, first 2 shown]
.LBB1_2:                                ; =>This Inner Loop Header: Depth=1
	v_add_co_u32_e32 v10, vcc, s8, v2
	v_addc_co_u32_e32 v11, vcc, v4, v3, vcc
	global_load_dwordx4 v[10:13], v[10:11], off
	v_add_co_u32_e32 v14, vcc, s12, v2
	v_addc_co_u32_e32 v15, vcc, v6, v3, vcc
	v_add_co_u32_e32 v0, vcc, s4, v0
	v_addc_co_u32_e32 v1, vcc, v1, v7, vcc
	v_add_co_u32_e32 v2, vcc, s6, v2
	v_addc_co_u32_e32 v3, vcc, v3, v8, vcc
	v_cmp_le_i64_e32 vcc, s[0:1], v[0:1]
	s_or_b64 s[10:11], vcc, s[10:11]
	s_waitcnt vmcnt(0)
	v_add_co_u32_e32 v9, vcc, s2, v12
	v_addc_co_u32_e32 v12, vcc, v13, v5, vcc
	v_mul_lo_u32 v33, v9, s3
	v_mul_hi_u32 v9, v9, s3
	v_add_u32_e32 v13, 0x9e3779b9, v10
	v_add_u32_e32 v16, 0xbb67ae85, v11
	;; [unrolled: 1-line block ×10, first 2 shown]
	v_xor_b32_e32 v10, v12, v10
	v_xor_b32_e32 v9, v9, v11
	v_add_u32_e32 v18, 0x76cf5d0a, v11
	v_add_u32_e32 v20, 0x32370b8f, v11
	;; [unrolled: 1-line block ×8, first 2 shown]
	v_mul_lo_u32 v11, v10, s3
	v_mul_hi_u32 v10, v10, s3
	v_xor_b32_e32 v12, v33, v16
	v_mul_lo_u32 v16, v9, s9
	v_mul_hi_u32 v9, v9, s9
	v_xor_b32_e32 v10, v12, v10
	v_xor_b32_e32 v9, v13, v9
	v_xor_b32_e32 v11, v11, v18
	v_mul_lo_u32 v12, v10, s9
	v_mul_hi_u32 v10, v10, s9
	v_xor_b32_e32 v13, v16, v17
	v_mul_lo_u32 v16, v9, s3
	v_mul_hi_u32 v9, v9, s3
	v_xor_b32_e32 v10, v13, v10
	v_xor_b32_e32 v9, v11, v9
	v_xor_b32_e32 v12, v12, v19
	;; [unrolled: 8-line block ×8, first 2 shown]
	v_mul_lo_u32 v13, v10, s3
	v_mul_hi_u32 v10, v10, s3
	v_xor_b32_e32 v12, v16, v32
	v_mul_lo_u32 v11, v9, s9
	v_mul_hi_u32 v9, v9, s9
	v_xor_b32_e32 v12, v12, v10
	v_xor_b32_e32 v10, v17, v9
	global_store_dwordx4 v[14:15], v[10:13], off offset:-8
	s_andn2_b64 exec, exec, s[10:11]
	s_cbranch_execnz .LBB1_2
.LBB1_3:
	s_endpgm
	.section	.rodata,"a",@progbits
	.p2align	6, 0x0
	.amdhsa_kernel _ZN2at6native12_GLOBAL__N_125philox_key_fold_in_kernelEPKmPmll
		.amdhsa_group_segment_fixed_size 0
		.amdhsa_private_segment_fixed_size 0
		.amdhsa_kernarg_size 288
		.amdhsa_user_sgpr_count 6
		.amdhsa_user_sgpr_private_segment_buffer 1
		.amdhsa_user_sgpr_dispatch_ptr 0
		.amdhsa_user_sgpr_queue_ptr 0
		.amdhsa_user_sgpr_kernarg_segment_ptr 1
		.amdhsa_user_sgpr_dispatch_id 0
		.amdhsa_user_sgpr_flat_scratch_init 0
		.amdhsa_user_sgpr_kernarg_preload_length 0
		.amdhsa_user_sgpr_kernarg_preload_offset 0
		.amdhsa_user_sgpr_private_segment_size 0
		.amdhsa_uses_dynamic_stack 0
		.amdhsa_system_sgpr_private_segment_wavefront_offset 0
		.amdhsa_system_sgpr_workgroup_id_x 1
		.amdhsa_system_sgpr_workgroup_id_y 0
		.amdhsa_system_sgpr_workgroup_id_z 0
		.amdhsa_system_sgpr_workgroup_info 0
		.amdhsa_system_vgpr_workitem_id 0
		.amdhsa_next_free_vgpr 34
		.amdhsa_next_free_sgpr 14
		.amdhsa_accum_offset 36
		.amdhsa_reserve_vcc 1
		.amdhsa_reserve_flat_scratch 0
		.amdhsa_float_round_mode_32 0
		.amdhsa_float_round_mode_16_64 0
		.amdhsa_float_denorm_mode_32 3
		.amdhsa_float_denorm_mode_16_64 3
		.amdhsa_dx10_clamp 1
		.amdhsa_ieee_mode 1
		.amdhsa_fp16_overflow 0
		.amdhsa_tg_split 0
		.amdhsa_exception_fp_ieee_invalid_op 0
		.amdhsa_exception_fp_denorm_src 0
		.amdhsa_exception_fp_ieee_div_zero 0
		.amdhsa_exception_fp_ieee_overflow 0
		.amdhsa_exception_fp_ieee_underflow 0
		.amdhsa_exception_fp_ieee_inexact 0
		.amdhsa_exception_int_div_zero 0
	.end_amdhsa_kernel
	.section	.text._ZN2at6native12_GLOBAL__N_125philox_key_fold_in_kernelEPKmPmll,"axG",@progbits,_ZN2at6native12_GLOBAL__N_125philox_key_fold_in_kernelEPKmPmll,comdat
.Lfunc_end1:
	.size	_ZN2at6native12_GLOBAL__N_125philox_key_fold_in_kernelEPKmPmll, .Lfunc_end1-_ZN2at6native12_GLOBAL__N_125philox_key_fold_in_kernelEPKmPmll
                                        ; -- End function
	.section	.AMDGPU.csdata,"",@progbits
; Kernel info:
; codeLenInByte = 828
; NumSgprs: 18
; NumVgprs: 34
; NumAgprs: 0
; TotalNumVgprs: 34
; ScratchSize: 0
; MemoryBound: 0
; FloatMode: 240
; IeeeMode: 1
; LDSByteSize: 0 bytes/workgroup (compile time only)
; SGPRBlocks: 2
; VGPRBlocks: 4
; NumSGPRsForWavesPerEU: 18
; NumVGPRsForWavesPerEU: 34
; AccumOffset: 36
; Occupancy: 8
; WaveLimiterHint : 0
; COMPUTE_PGM_RSRC2:SCRATCH_EN: 0
; COMPUTE_PGM_RSRC2:USER_SGPR: 6
; COMPUTE_PGM_RSRC2:TRAP_HANDLER: 0
; COMPUTE_PGM_RSRC2:TGID_X_EN: 1
; COMPUTE_PGM_RSRC2:TGID_Y_EN: 0
; COMPUTE_PGM_RSRC2:TGID_Z_EN: 0
; COMPUTE_PGM_RSRC2:TIDIG_COMP_CNT: 0
; COMPUTE_PGM_RSRC3_GFX90A:ACCUM_OFFSET: 8
; COMPUTE_PGM_RSRC3_GFX90A:TG_SPLIT: 0
	.text
	.p2alignl 6, 3212836864
	.fill 256, 4, 3212836864
	.type	__hip_cuid_a23c51d3ab6575c5,@object ; @__hip_cuid_a23c51d3ab6575c5
	.section	.bss,"aw",@nobits
	.globl	__hip_cuid_a23c51d3ab6575c5
__hip_cuid_a23c51d3ab6575c5:
	.byte	0                               ; 0x0
	.size	__hip_cuid_a23c51d3ab6575c5, 1

	.ident	"AMD clang version 19.0.0git (https://github.com/RadeonOpenCompute/llvm-project roc-6.4.0 25133 c7fe45cf4b819c5991fe208aaa96edf142730f1d)"
	.section	".note.GNU-stack","",@progbits
	.addrsig
	.addrsig_sym __hip_cuid_a23c51d3ab6575c5
	.amdgpu_metadata
---
amdhsa.kernels:
  - .agpr_count:     0
    .args:
      - .actual_access:  read_only
        .address_space:  global
        .offset:         0
        .size:           8
        .value_kind:     global_buffer
      - .actual_access:  write_only
        .address_space:  global
        .offset:         8
        .size:           8
        .value_kind:     global_buffer
      - .offset:         16
        .size:           8
        .value_kind:     by_value
      - .offset:         24
        .size:           8
        .value_kind:     by_value
      - .offset:         32
        .size:           4
        .value_kind:     hidden_block_count_x
      - .offset:         36
        .size:           4
        .value_kind:     hidden_block_count_y
      - .offset:         40
        .size:           4
        .value_kind:     hidden_block_count_z
      - .offset:         44
        .size:           2
        .value_kind:     hidden_group_size_x
      - .offset:         46
        .size:           2
        .value_kind:     hidden_group_size_y
      - .offset:         48
        .size:           2
        .value_kind:     hidden_group_size_z
      - .offset:         50
        .size:           2
        .value_kind:     hidden_remainder_x
      - .offset:         52
        .size:           2
        .value_kind:     hidden_remainder_y
      - .offset:         54
        .size:           2
        .value_kind:     hidden_remainder_z
      - .offset:         72
        .size:           8
        .value_kind:     hidden_global_offset_x
      - .offset:         80
        .size:           8
        .value_kind:     hidden_global_offset_y
      - .offset:         88
        .size:           8
        .value_kind:     hidden_global_offset_z
      - .offset:         96
        .size:           2
        .value_kind:     hidden_grid_dims
    .group_segment_fixed_size: 0
    .kernarg_segment_align: 8
    .kernarg_segment_size: 288
    .language:       OpenCL C
    .language_version:
      - 2
      - 0
    .max_flat_workgroup_size: 1024
    .name:           _ZN2at6native12_GLOBAL__N_123philox_key_split_kernelEPKmPmll
    .private_segment_fixed_size: 0
    .sgpr_count:     30
    .sgpr_spill_count: 0
    .symbol:         _ZN2at6native12_GLOBAL__N_123philox_key_split_kernelEPKmPmll.kd
    .uniform_work_group_size: 1
    .uses_dynamic_stack: false
    .vgpr_count:     29
    .vgpr_spill_count: 0
    .wavefront_size: 64
  - .agpr_count:     0
    .args:
      - .actual_access:  read_only
        .address_space:  global
        .offset:         0
        .size:           8
        .value_kind:     global_buffer
      - .actual_access:  write_only
        .address_space:  global
        .offset:         8
        .size:           8
        .value_kind:     global_buffer
      - .offset:         16
        .size:           8
        .value_kind:     by_value
      - .offset:         24
        .size:           8
        .value_kind:     by_value
      - .offset:         32
        .size:           4
        .value_kind:     hidden_block_count_x
      - .offset:         36
        .size:           4
        .value_kind:     hidden_block_count_y
      - .offset:         40
        .size:           4
        .value_kind:     hidden_block_count_z
      - .offset:         44
        .size:           2
        .value_kind:     hidden_group_size_x
      - .offset:         46
        .size:           2
        .value_kind:     hidden_group_size_y
      - .offset:         48
        .size:           2
        .value_kind:     hidden_group_size_z
      - .offset:         50
        .size:           2
        .value_kind:     hidden_remainder_x
      - .offset:         52
        .size:           2
        .value_kind:     hidden_remainder_y
      - .offset:         54
        .size:           2
        .value_kind:     hidden_remainder_z
      - .offset:         72
        .size:           8
        .value_kind:     hidden_global_offset_x
      - .offset:         80
        .size:           8
        .value_kind:     hidden_global_offset_y
      - .offset:         88
        .size:           8
        .value_kind:     hidden_global_offset_z
      - .offset:         96
        .size:           2
        .value_kind:     hidden_grid_dims
    .group_segment_fixed_size: 0
    .kernarg_segment_align: 8
    .kernarg_segment_size: 288
    .language:       OpenCL C
    .language_version:
      - 2
      - 0
    .max_flat_workgroup_size: 1024
    .name:           _ZN2at6native12_GLOBAL__N_125philox_key_fold_in_kernelEPKmPmll
    .private_segment_fixed_size: 0
    .sgpr_count:     18
    .sgpr_spill_count: 0
    .symbol:         _ZN2at6native12_GLOBAL__N_125philox_key_fold_in_kernelEPKmPmll.kd
    .uniform_work_group_size: 1
    .uses_dynamic_stack: false
    .vgpr_count:     34
    .vgpr_spill_count: 0
    .wavefront_size: 64
amdhsa.target:   amdgcn-amd-amdhsa--gfx90a
amdhsa.version:
  - 1
  - 2
...

	.end_amdgpu_metadata
